;; amdgpu-corpus repo=zjin-lcf/HeCBench kind=compiled arch=gfx950 opt=O3
	.amdgcn_target "amdgcn-amd-amdhsa--gfx950"
	.amdhsa_code_object_version 6
	.text
	.protected	_Z15benchmark_shmemP15HIP_vector_typeIfLj4EE ; -- Begin function _Z15benchmark_shmemP15HIP_vector_typeIfLj4EE
	.globl	_Z15benchmark_shmemP15HIP_vector_typeIfLj4EE
	.p2align	8
	.type	_Z15benchmark_shmemP15HIP_vector_typeIfLj4EE,@function
_Z15benchmark_shmemP15HIP_vector_typeIfLj4EE: ; @_Z15benchmark_shmemP15HIP_vector_typeIfLj4EE
; %bb.0:
	s_load_dword s3, s[0:1], 0x14
	v_add_u32_e32 v2, 11, v0
	v_add_u32_e32 v4, 19, v0
	;; [unrolled: 1-line block ×4, first 2 shown]
	v_cvt_f32_u32_e32 v3, v2
	v_cvt_f32_u32_e32 v2, v0
	;; [unrolled: 1-line block ×5, first 2 shown]
	v_add_u32_e32 v6, 1, v0
	v_add_u32_e32 v7, 12, v0
	v_cvt_f32_u32_e32 v7, v7
	v_cvt_f32_u32_e32 v6, v6
	s_waitcnt lgkmcnt(0)
	s_and_b32 s3, s3, 0xffff
	v_lshlrev_b32_e32 v1, 4, v0
	s_lshl_b32 s4, s3, 4
	ds_write_b128 v1, v[2:5]
	v_add_u32_e32 v2, s4, v1
	ds_write_b96 v2, v[6:8]
	v_add_u32_e32 v8, 24, v0
	v_add_u32_e32 v5, 14, v0
	v_cvt_f32_u32_e32 v17, v8
	v_add_u32_e32 v8, 26, v0
	v_cvt_f32_u32_e32 v13, v5
	v_add_u32_e32 v5, 7, v0
	v_add_u32_e32 v6, 18, v0
	;; [unrolled: 1-line block ×3, first 2 shown]
	v_cvt_f32_u32_e32 v11, v8
	v_add_u32_e32 v8, 30, v0
	v_add_u32_e32 v3, 22, v0
	;; [unrolled: 1-line block ×3, first 2 shown]
	v_cvt_f32_u32_e32 v7, v6
	v_cvt_f32_u32_e32 v6, v5
	;; [unrolled: 1-line block ×5, first 2 shown]
	s_lshl_b32 s5, s3, 5
	v_cvt_f32_u32_e32 v12, v4
	v_add_u32_e32 v3, s5, v1
	s_add_i32 s5, s5, s4
	v_add_u32_e32 v4, s5, v1
	v_mov_b32_e32 v8, v11
	ds_write_b32 v2, v17 offset:12
	ds_write2_b64 v3, v[12:13], v[10:11] offset1:1
	ds_write_b128 v4, v[6:9]
	v_add_u32_e32 v6, 17, v0
	v_cvt_f32_u32_e32 v8, v6
	v_add_u32_e32 v6, 36, v0
	v_add_u32_e32 v5, 32, v0
	;; [unrolled: 1-line block ×3, first 2 shown]
	v_cvt_f32_u32_e32 v15, v6
	v_add_u32_e32 v6, 40, v0
	v_cvt_f32_u32_e32 v14, v5
	v_cvt_f32_u32_e32 v9, v7
	;; [unrolled: 1-line block ×3, first 2 shown]
	s_add_i32 s5, s5, s4
	v_add_u32_e32 v5, s5, v1
	s_add_i32 s5, s5, s4
	v_add_u32_e32 v6, s5, v1
	v_mov_b32_e32 v10, v15
	v_add_u32_e32 v7, s4, v2
	ds_write2_b64 v5, v[16:17], v[14:15] offset1:1
	ds_write_b128 v6, v[8:11]
	v_add_u32_e32 v8, s4, v7
	v_add_u32_e32 v9, s4, v8
	;; [unrolled: 1-line block ×3, first 2 shown]
	s_movk_i32 s4, 0x400
	s_waitcnt lgkmcnt(0)
	s_barrier
.LBB0_1:                                ; =>This Inner Loop Header: Depth=1
	ds_read_b128 v[12:15], v1
	ds_read_b128 v[16:19], v2
	s_sub_i32 s4, s4, 32
	s_cmp_eq_u32 s4, 0
	s_waitcnt lgkmcnt(1)
	ds_write_b128 v2, v[12:15]
	s_waitcnt lgkmcnt(1)
	ds_write_b128 v1, v[16:19]
	ds_read_b128 v[12:15], v7
	ds_read_b128 v[16:19], v8
	s_waitcnt lgkmcnt(1)
	ds_write_b128 v8, v[12:15]
	s_waitcnt lgkmcnt(1)
	ds_write_b128 v7, v[16:19]
	ds_read_b128 v[12:15], v9
	ds_read_b128 v[16:19], v10
	s_waitcnt lgkmcnt(1)
	ds_write_b128 v10, v[12:15]
	s_waitcnt lgkmcnt(1)
	ds_write_b128 v9, v[16:19]
	s_waitcnt lgkmcnt(0)
	s_barrier
	ds_read_b128 v[12:15], v2
	ds_read_b128 v[16:19], v7
	s_waitcnt lgkmcnt(1)
	ds_write_b128 v7, v[12:15]
	s_waitcnt lgkmcnt(1)
	ds_write_b128 v2, v[16:19]
	ds_read_b128 v[12:15], v8
	ds_read_b128 v[16:19], v9
	s_waitcnt lgkmcnt(1)
	ds_write_b128 v9, v[12:15]
	s_waitcnt lgkmcnt(1)
	ds_write_b128 v8, v[16:19]
	s_waitcnt lgkmcnt(0)
	s_barrier
	ds_read_b128 v[12:15], v1
	ds_read_b128 v[16:19], v2
	s_waitcnt lgkmcnt(1)
	ds_write_b128 v2, v[12:15]
	s_waitcnt lgkmcnt(1)
	ds_write_b128 v1, v[16:19]
	ds_read_b128 v[12:15], v7
	ds_read_b128 v[16:19], v8
	s_waitcnt lgkmcnt(1)
	ds_write_b128 v8, v[12:15]
	s_waitcnt lgkmcnt(1)
	ds_write_b128 v7, v[16:19]
	ds_read_b128 v[12:15], v9
	ds_read_b128 v[16:19], v10
	s_waitcnt lgkmcnt(1)
	ds_write_b128 v10, v[12:15]
	s_waitcnt lgkmcnt(1)
	ds_write_b128 v9, v[16:19]
	s_waitcnt lgkmcnt(0)
	s_barrier
	ds_read_b128 v[12:15], v2
	ds_read_b128 v[16:19], v7
	s_waitcnt lgkmcnt(1)
	ds_write_b128 v7, v[12:15]
	s_waitcnt lgkmcnt(1)
	ds_write_b128 v2, v[16:19]
	ds_read_b128 v[12:15], v8
	ds_read_b128 v[16:19], v9
	s_waitcnt lgkmcnt(1)
	ds_write_b128 v9, v[12:15]
	s_waitcnt lgkmcnt(1)
	ds_write_b128 v8, v[16:19]
	s_waitcnt lgkmcnt(0)
	s_barrier
	ds_read_b128 v[12:15], v1
	ds_read_b128 v[16:19], v2
	;; [unrolled: 34-line block ×31, first 2 shown]
	s_waitcnt lgkmcnt(1)
	ds_write_b128 v2, v[12:15]
	s_waitcnt lgkmcnt(1)
	ds_write_b128 v1, v[16:19]
	ds_read_b128 v[12:15], v7
	ds_read_b128 v[16:19], v8
	s_waitcnt lgkmcnt(1)
	ds_write_b128 v8, v[12:15]
	s_waitcnt lgkmcnt(1)
	ds_write_b128 v7, v[16:19]
	ds_read_b128 v[12:15], v9
	ds_read_b128 v[16:19], v10
	s_waitcnt lgkmcnt(1)
	ds_write_b128 v10, v[12:15]
	s_waitcnt lgkmcnt(1)
	ds_write_b128 v9, v[16:19]
	s_waitcnt lgkmcnt(0)
	s_barrier
	ds_read_b128 v[12:15], v2
	ds_read_b128 v[16:19], v7
	s_waitcnt lgkmcnt(1)
	ds_write_b128 v7, v[12:15]
	s_waitcnt lgkmcnt(1)
	ds_write_b128 v2, v[16:19]
	ds_read_b128 v[12:15], v8
	ds_read_b128 v[16:19], v9
	s_waitcnt lgkmcnt(1)
	ds_write_b128 v9, v[12:15]
	s_waitcnt lgkmcnt(1)
	ds_write_b128 v8, v[16:19]
	s_waitcnt lgkmcnt(0)
	s_barrier
	s_cbranch_scc0 .LBB0_1
; %bb.2:
	s_mul_i32 s2, s2, s3
	s_load_dwordx2 s[0:1], s[0:1], 0x0
	v_add_u32_e32 v24, s2, v0
	ds_read_b128 v[8:11], v1
	ds_read_b128 v[12:15], v2
	;; [unrolled: 1-line block ×6, first 2 shown]
	s_waitcnt lgkmcnt(0)
	v_pk_add_f32 v[8:9], v[8:9], v[12:13]
	v_pk_add_f32 v[10:11], v[10:11], v[14:15]
	;; [unrolled: 1-line block ×8, first 2 shown]
	v_ashrrev_i32_e32 v25, 31, v24
	v_pk_add_f32 v[0:1], v[0:1], v[4:5]
	v_pk_add_f32 v[2:3], v[2:3], v[6:7]
	v_lshl_add_u64 v[4:5], v[24:25], 4, s[0:1]
	global_store_dwordx4 v[4:5], v[0:3], off
	s_endpgm
	.section	.rodata,"a",@progbits
	.p2align	6, 0x0
	.amdhsa_kernel _Z15benchmark_shmemP15HIP_vector_typeIfLj4EE
		.amdhsa_group_segment_fixed_size 24576
		.amdhsa_private_segment_fixed_size 0
		.amdhsa_kernarg_size 264
		.amdhsa_user_sgpr_count 2
		.amdhsa_user_sgpr_dispatch_ptr 0
		.amdhsa_user_sgpr_queue_ptr 0
		.amdhsa_user_sgpr_kernarg_segment_ptr 1
		.amdhsa_user_sgpr_dispatch_id 0
		.amdhsa_user_sgpr_kernarg_preload_length 0
		.amdhsa_user_sgpr_kernarg_preload_offset 0
		.amdhsa_user_sgpr_private_segment_size 0
		.amdhsa_uses_dynamic_stack 0
		.amdhsa_enable_private_segment 0
		.amdhsa_system_sgpr_workgroup_id_x 1
		.amdhsa_system_sgpr_workgroup_id_y 0
		.amdhsa_system_sgpr_workgroup_id_z 0
		.amdhsa_system_sgpr_workgroup_info 0
		.amdhsa_system_vgpr_workitem_id 0
		.amdhsa_next_free_vgpr 26
		.amdhsa_next_free_sgpr 6
		.amdhsa_accum_offset 28
		.amdhsa_reserve_vcc 0
		.amdhsa_float_round_mode_32 0
		.amdhsa_float_round_mode_16_64 0
		.amdhsa_float_denorm_mode_32 3
		.amdhsa_float_denorm_mode_16_64 3
		.amdhsa_dx10_clamp 1
		.amdhsa_ieee_mode 1
		.amdhsa_fp16_overflow 0
		.amdhsa_tg_split 0
		.amdhsa_exception_fp_ieee_invalid_op 0
		.amdhsa_exception_fp_denorm_src 0
		.amdhsa_exception_fp_ieee_div_zero 0
		.amdhsa_exception_fp_ieee_overflow 0
		.amdhsa_exception_fp_ieee_underflow 0
		.amdhsa_exception_fp_ieee_inexact 0
		.amdhsa_exception_int_div_zero 0
	.end_amdhsa_kernel
	.text
.Lfunc_end0:
	.size	_Z15benchmark_shmemP15HIP_vector_typeIfLj4EE, .Lfunc_end0-_Z15benchmark_shmemP15HIP_vector_typeIfLj4EE
                                        ; -- End function
	.set _Z15benchmark_shmemP15HIP_vector_typeIfLj4EE.num_vgpr, 26
	.set _Z15benchmark_shmemP15HIP_vector_typeIfLj4EE.num_agpr, 0
	.set _Z15benchmark_shmemP15HIP_vector_typeIfLj4EE.numbered_sgpr, 6
	.set _Z15benchmark_shmemP15HIP_vector_typeIfLj4EE.num_named_barrier, 0
	.set _Z15benchmark_shmemP15HIP_vector_typeIfLj4EE.private_seg_size, 0
	.set _Z15benchmark_shmemP15HIP_vector_typeIfLj4EE.uses_vcc, 0
	.set _Z15benchmark_shmemP15HIP_vector_typeIfLj4EE.uses_flat_scratch, 0
	.set _Z15benchmark_shmemP15HIP_vector_typeIfLj4EE.has_dyn_sized_stack, 0
	.set _Z15benchmark_shmemP15HIP_vector_typeIfLj4EE.has_recursion, 0
	.set _Z15benchmark_shmemP15HIP_vector_typeIfLj4EE.has_indirect_call, 0
	.section	.AMDGPU.csdata,"",@progbits
; Kernel info:
; codeLenInByte = 7416
; TotalNumSgprs: 12
; NumVgprs: 26
; NumAgprs: 0
; TotalNumVgprs: 26
; ScratchSize: 0
; MemoryBound: 1
; FloatMode: 240
; IeeeMode: 1
; LDSByteSize: 24576 bytes/workgroup (compile time only)
; SGPRBlocks: 1
; VGPRBlocks: 3
; NumSGPRsForWavesPerEU: 12
; NumVGPRsForWavesPerEU: 26
; AccumOffset: 28
; Occupancy: 8
; WaveLimiterHint : 1
; COMPUTE_PGM_RSRC2:SCRATCH_EN: 0
; COMPUTE_PGM_RSRC2:USER_SGPR: 2
; COMPUTE_PGM_RSRC2:TRAP_HANDLER: 0
; COMPUTE_PGM_RSRC2:TGID_X_EN: 1
; COMPUTE_PGM_RSRC2:TGID_Y_EN: 0
; COMPUTE_PGM_RSRC2:TGID_Z_EN: 0
; COMPUTE_PGM_RSRC2:TIDIG_COMP_CNT: 0
; COMPUTE_PGM_RSRC3_GFX90A:ACCUM_OFFSET: 6
; COMPUTE_PGM_RSRC3_GFX90A:TG_SPLIT: 0
	.text
	.p2alignl 6, 3212836864
	.fill 256, 4, 3212836864
	.section	.AMDGPU.gpr_maximums,"",@progbits
	.set amdgpu.max_num_vgpr, 0
	.set amdgpu.max_num_agpr, 0
	.set amdgpu.max_num_sgpr, 0
	.text
	.type	__hip_cuid_1515f277787f2ebe,@object ; @__hip_cuid_1515f277787f2ebe
	.section	.bss,"aw",@nobits
	.globl	__hip_cuid_1515f277787f2ebe
__hip_cuid_1515f277787f2ebe:
	.byte	0                               ; 0x0
	.size	__hip_cuid_1515f277787f2ebe, 1

	.ident	"AMD clang version 22.0.0git (https://github.com/RadeonOpenCompute/llvm-project roc-7.2.4 26084 f58b06dce1f9c15707c5f808fd002e18c2accf7e)"
	.section	".note.GNU-stack","",@progbits
	.addrsig
	.addrsig_sym __hip_cuid_1515f277787f2ebe
	.amdgpu_metadata
---
amdhsa.kernels:
  - .agpr_count:     0
    .args:
      - .address_space:  global
        .offset:         0
        .size:           8
        .value_kind:     global_buffer
      - .offset:         8
        .size:           4
        .value_kind:     hidden_block_count_x
      - .offset:         12
        .size:           4
        .value_kind:     hidden_block_count_y
      - .offset:         16
        .size:           4
        .value_kind:     hidden_block_count_z
      - .offset:         20
        .size:           2
        .value_kind:     hidden_group_size_x
      - .offset:         22
        .size:           2
        .value_kind:     hidden_group_size_y
      - .offset:         24
        .size:           2
        .value_kind:     hidden_group_size_z
      - .offset:         26
        .size:           2
        .value_kind:     hidden_remainder_x
      - .offset:         28
        .size:           2
        .value_kind:     hidden_remainder_y
      - .offset:         30
        .size:           2
        .value_kind:     hidden_remainder_z
      - .offset:         48
        .size:           8
        .value_kind:     hidden_global_offset_x
      - .offset:         56
        .size:           8
        .value_kind:     hidden_global_offset_y
      - .offset:         64
        .size:           8
        .value_kind:     hidden_global_offset_z
      - .offset:         72
        .size:           2
        .value_kind:     hidden_grid_dims
    .group_segment_fixed_size: 24576
    .kernarg_segment_align: 8
    .kernarg_segment_size: 264
    .language:       OpenCL C
    .language_version:
      - 2
      - 0
    .max_flat_workgroup_size: 1024
    .name:           _Z15benchmark_shmemP15HIP_vector_typeIfLj4EE
    .private_segment_fixed_size: 0
    .sgpr_count:     12
    .sgpr_spill_count: 0
    .symbol:         _Z15benchmark_shmemP15HIP_vector_typeIfLj4EE.kd
    .uniform_work_group_size: 1
    .uses_dynamic_stack: false
    .vgpr_count:     26
    .vgpr_spill_count: 0
    .wavefront_size: 64
amdhsa.target:   amdgcn-amd-amdhsa--gfx950
amdhsa.version:
  - 1
  - 2
...

	.end_amdgpu_metadata
